;; amdgpu-corpus repo=zjin-lcf/HeCBench kind=compiled arch=gfx1250 opt=O3
	.amdgcn_target "amdgcn-amd-amdhsa--gfx1250"
	.amdhsa_code_object_version 6
	.text
	.protected	_Z11fasten_mainmmmmPK4AtomS1_PKfS3_S3_S3_S3_S3_PK8FFParamsPf ; -- Begin function _Z11fasten_mainmmmmPK4AtomS1_PKfS3_S3_S3_S3_S3_PK8FFParamsPf
	.globl	_Z11fasten_mainmmmmPK4AtomS1_PKfS3_S3_S3_S3_S3_PK8FFParamsPf
	.p2align	8
	.type	_Z11fasten_mainmmmmPK4AtomS1_PKfS3_S3_S3_S3_S3_PK8FFParamsPf,@function
_Z11fasten_mainmmmmPK4AtomS1_PKfS3_S3_S3_S3_S3_PK8FFParamsPf: ; @_Z11fasten_mainmmmmPK4AtomS1_PKfS3_S3_S3_S3_S3_PK8FFParamsPf
; %bb.0:
	s_clause 0x1
	s_load_b256 s[16:23], s[0:1], 0x0
	s_load_b32 s4, s[0:1], 0x7c
	v_mov_b32_e32 v1, 0
	s_mov_b32 s5, exec_lo
	s_wait_kmcnt 0x0
	s_delay_alu instid0(VALU_DEP_1)
	v_cmpx_gt_u64_e64 s[16:17], v[0:1]
	s_cbranch_execz .LBB0_3
; %bb.1:
	s_load_b64 s[2:3], s[0:1], 0x60
	s_and_b32 s6, 0xffff, s4
	v_mov_b64_e32 v[4:5], v[0:1]
	v_add_nc_u32_e32 v2, s6, v0
	v_lshl_add_u32 v6, v0, 4, 0
	s_mov_b32 s7, 0
	s_lshl_b32 s8, s6, 4
.LBB0_2:                                ; =>This Inner Loop Header: Depth=1
	s_wait_kmcnt 0x0
	s_delay_alu instid0(VALU_DEP_3)
	v_lshl_add_u64 v[4:5], v[4:5], 4, s[2:3]
	v_ashrrev_i32_e32 v3, 31, v2
	global_load_b128 v[8:11], v[4:5], off
	v_cmp_le_u64_e32 vcc_lo, s[16:17], v[2:3]
	s_wait_xcnt 0x0
	v_mov_b64_e32 v[4:5], v[2:3]
	v_add_nc_u32_e32 v2, s6, v2
	s_or_b32 s7, vcc_lo, s7
	s_wait_loadcnt 0x0
	ds_store_2addr_b64 v6, v[8:9], v[10:11] offset1:1
	v_add_nc_u32_e32 v6, s8, v6
	s_and_not1_b32 exec_lo, exec_lo, s7
	s_cbranch_execnz .LBB0_2
.LBB0_3:
	s_or_b32 exec_lo, exec_lo, s5
	s_clause 0x2
	s_load_b64 s[16:17], s[0:1], 0x68
	s_load_b256 s[24:31], s[0:1], 0x40
	s_load_b256 s[8:15], s[0:1], 0x20
	s_wait_xcnt 0x0
	s_bfe_u32 s0, ttmp6, 0x4000c
	s_and_b32 s2, ttmp6, 15
	s_add_co_i32 s0, s0, 1
	s_getreg_b32 s3, hwreg(HW_REG_IB_STS2, 6, 4)
	s_mul_i32 s0, ttmp9, s0
	s_and_b32 s1, 0xffff, s4
	s_add_co_i32 s2, s2, s0
	s_cmp_eq_u32 s3, 0
	s_mov_b64 s[4:5], 0xfe5163ab
	s_cselect_b32 s0, ttmp9, s2
	s_add_nc_u64 s[2:3], s[18:19], -1
	v_mad_nc_u64_u32 v[4:5], s1, s0, v[0:1]
	s_mov_b32 s7, 0xb94c1982
	v_max_u64 v[10:11], s[20:21], 1
	v_mov_b32_e32 v7, 0
	s_delay_alu instid0(VALU_DEP_1) | instskip(SKIP_3) | instid1(VALU_DEP_2)
	v_dual_mov_b32 v35, v7 :: v_dual_mov_b32 v41, v7
	v_dual_mov_b32 v45, v7 :: v_dual_mov_b32 v47, v7
	v_cmp_gt_u64_e64 s0, s[18:19], v[4:5]
	v_dual_mov_b32 v9, v7 :: v_dual_mov_b32 v13, v7
	v_dual_mov_b32 v43, v7 :: v_dual_cndmask_b32 v1, s3, v5, s0
	v_cndmask_b32_e64 v0, s2, v4, s0
	s_mov_b32 s3, 0x7fffff
	s_delay_alu instid0(VALU_DEP_1) | instskip(SKIP_1) | instid1(VALU_DEP_1)
	v_lshlrev_b64_e32 v[0:1], 2, v[0:1]
	s_wait_kmcnt 0x0
	v_add_nc_u64_e32 v[2:3], s[12:13], v[0:1]
	v_add_nc_u64_e32 v[48:49], s[26:27], v[0:1]
	;; [unrolled: 1-line block ×3, first 2 shown]
	s_mov_b32 s12, 0x37d75334
	global_load_b32 v36, v[2:3], off
	s_wait_xcnt 0x0
	v_add_nc_u64_e32 v[2:3], s[14:15], v[0:1]
	global_load_b32 v37, v[2:3], off
	s_wait_xcnt 0x0
	v_add_nc_u64_e32 v[2:3], s[24:25], v[0:1]
	global_load_b32 v38, v[2:3], off
	s_wait_xcnt 0x0
	v_mov_b32_e32 v3, v7
	s_wait_loadcnt 0x2
	v_and_b32_e32 v39, 0x7fffffff, v36
	v_cmp_gt_f32_e64 s6, 0x48000000, |v36|
	s_delay_alu instid0(VALU_DEP_2) | instskip(NEXT) | instid1(VALU_DEP_1)
	v_and_or_b32 v6, v39, s3, 0x800000
	v_mul_u64_e32 v[18:19], s[4:5], v[6:7]
	s_wait_loadcnt 0x0
	v_mul_f32_e64 v46, 0x3f22f983, |v38|
	s_delay_alu instid0(VALU_DEP_2) | instskip(NEXT) | instid1(VALU_DEP_1)
	v_mov_b32_e32 v2, v19
	v_mad_nc_u64_u32 v[22:23], 0x3c439041, v6, v[2:3]
	s_delay_alu instid0(VALU_DEP_1) | instskip(SKIP_1) | instid1(VALU_DEP_2)
	v_mov_b32_e32 v2, v23
	v_and_b32_e32 v23, 0x7fffffff, v37
	v_mad_nc_u64_u32 v[20:21], 0xdb629599, v6, v[2:3]
	s_delay_alu instid0(VALU_DEP_1) | instskip(NEXT) | instid1(VALU_DEP_1)
	v_dual_mov_b32 v2, v21 :: v_dual_mov_b32 v21, v7
	v_mad_nc_u64_u32 v[24:25], 0xf534ddc0, v6, v[2:3]
	s_delay_alu instid0(VALU_DEP_1) | instskip(NEXT) | instid1(VALU_DEP_1)
	v_mov_b32_e32 v2, v25
	v_mad_nc_u64_u32 v[26:27], 0xfc2757d1, v6, v[2:3]
	s_delay_alu instid0(VALU_DEP_1) | instskip(NEXT) | instid1(VALU_DEP_1)
	v_mov_b32_e32 v2, v27
	v_mad_nc_u64_u32 v[28:29], 0x4e441529, v6, v[2:3]
	s_delay_alu instid0(VALU_DEP_1) | instskip(NEXT) | instid1(VALU_DEP_1)
	v_dual_mov_b32 v2, v29 :: v_dual_mov_b32 v29, v7
	v_mad_nc_u64_u32 v[30:31], 0xa2f9836e, v6, v[2:3]
	v_and_or_b32 v6, v23, s3, 0x800000
	s_delay_alu instid0(VALU_DEP_1) | instskip(NEXT) | instid1(VALU_DEP_1)
	v_mul_u64_e32 v[2:3], s[4:5], v[6:7]
	v_dual_mov_b32 v8, v3 :: v_dual_lshrrev_b32 v3, 23, v39
	s_delay_alu instid0(VALU_DEP_1) | instskip(NEXT) | instid1(VALU_DEP_1)
	v_mad_nc_u64_u32 v[14:15], 0x3c439041, v6, v[8:9]
	v_mov_b32_e32 v8, v15
	s_delay_alu instid0(VALU_DEP_1) | instskip(SKIP_1) | instid1(VALU_DEP_2)
	v_mad_nc_u64_u32 v[16:17], 0xdb629599, v6, v[8:9]
	v_max_u64 v[8:9], s[22:23], 1
	v_mov_b32_e32 v12, v17
	v_mul_f32_e64 v17, 0x3f22f983, |v36|
	s_delay_alu instid0(VALU_DEP_2) | instskip(SKIP_1) | instid1(VALU_DEP_3)
	v_mad_nc_u64_u32 v[32:33], 0xf534ddc0, v6, v[12:13]
	v_add_nc_u32_e32 v15, 0xffffff88, v3
	v_rndne_f32_e32 v17, v17
	s_delay_alu instid0(VALU_DEP_3) | instskip(NEXT) | instid1(VALU_DEP_3)
	v_dual_mov_b32 v3, v7 :: v_dual_mov_b32 v34, v33
	v_cmp_lt_u32_e32 vcc_lo, 63, v15
	s_delay_alu instid0(VALU_DEP_2) | instskip(SKIP_3) | instid1(VALU_DEP_3)
	v_mad_nc_u64_u32 v[34:35], 0xfc2757d1, v6, v[34:35]
	v_cndmask_b32_e64 v12, 0, 0xffffffc0, vcc_lo
	v_dual_cndmask_b32 v19, v26, v20 :: v_dual_cndmask_b32 v22, v24, v22
	v_dual_cndmask_b32 v30, v30, v26 :: v_dual_cndmask_b32 v33, v28, v24
	v_add_nc_u32_e32 v15, v12, v15
	v_add_nc_u64_e32 v[12:13], s[28:29], v[0:1]
	v_dual_mov_b32 v1, v7 :: v_dual_cndmask_b32 v18, v20, v18
	s_delay_alu instid0(VALU_DEP_3)
	v_cmp_lt_u32_e64 s1, 31, v15
	v_mov_b32_e32 v40, v35
	v_cndmask_b32_e32 v28, v31, v28, vcc_lo
	global_load_b32 v25, v[12:13], off
	global_load_b32 v12, v[48:49], off
	v_cndmask_b32_e64 v0, 0, 0xffffffe0, s1
	v_mad_nc_u64_u32 v[26:27], 0x4e441529, v6, v[40:41]
	global_load_b32 v13, v[50:51], off
	s_wait_xcnt 0x0
	v_fma_f32 v50, 0xbfc90fda, v17, |v36|
	s_wait_loadcnt_dscnt 0x0
	v_add_nc_u32_e32 v0, v0, v15
	s_barrier_signal -1
	s_barrier_wait -1
	s_delay_alu instid0(VALU_DEP_1) | instskip(NEXT) | instid1(VALU_DEP_1)
	v_cmp_lt_u32_e64 s2, 31, v0
	v_cndmask_b32_e64 v15, 0, 0xffffffe0, s2
	s_delay_alu instid0(VALU_DEP_1) | instskip(SKIP_1) | instid1(VALU_DEP_2)
	v_dual_add_nc_u32 v0, v15, v0 :: v_dual_cndmask_b32 v15, v30, v33, s1
	v_dual_cndmask_b32 v24, v28, v30, s1 :: v_dual_cndmask_b32 v30, v33, v19, s1
	v_dual_cndmask_b32 v35, v19, v22, s1 :: v_dual_sub_nc_u32 v31, 32, v0
	s_delay_alu instid0(VALU_DEP_2) | instskip(NEXT) | instid1(VALU_DEP_2)
	v_dual_mov_b32 v28, v27 :: v_dual_cndmask_b32 v19, v24, v15, s2
	v_dual_cndmask_b32 v24, v15, v30, s2 :: v_dual_cndmask_b32 v27, v30, v35, s2
	v_cmp_eq_u32_e32 vcc_lo, 0, v0
	v_and_b32_e32 v15, 0x7fffffff, v38
	s_delay_alu instid0(VALU_DEP_4) | instskip(NEXT) | instid1(VALU_DEP_4)
	v_mad_nc_u64_u32 v[28:29], 0xa2f9836e, v6, v[28:29]
	v_alignbit_b32 v20, v19, v24, v31
	v_alignbit_b32 v30, v24, v27, v31
	v_mul_f32_e64 v33, 0x3f22f983, |v37|
	v_and_or_b32 v6, v15, s3, 0x800000
	s_delay_alu instid0(VALU_DEP_4) | instskip(NEXT) | instid1(VALU_DEP_4)
	v_dual_cndmask_b32 v0, v20, v19, vcc_lo :: v_dual_cndmask_b32 v20, v22, v18, s1
	v_dual_lshrrev_b32 v22, 23, v23 :: v_dual_cndmask_b32 v24, v30, v24, vcc_lo
	v_lshrrev_b32_e32 v30, 23, v15
	s_delay_alu instid0(VALU_DEP_4) | instskip(NEXT) | instid1(VALU_DEP_4)
	v_mul_u64_e32 v[18:19], s[4:5], v[6:7]
	v_cndmask_b32_e64 v20, v35, v20, s2
	v_bfe_u32 v48, v0, 29, 1
	v_alignbit_b32 v35, v0, v24, 30
	v_add_nc_u32_e32 v30, 0xffffff88, v30
	v_rndne_f32_e32 v33, v33
	v_alignbit_b32 v31, v27, v20, v31
	v_add_nc_u32_e32 v22, 0xffffff88, v22
	s_delay_alu instid0(VALU_DEP_4) | instskip(NEXT) | instid1(VALU_DEP_3)
	v_cmp_lt_u32_e64 s2, 63, v30
	v_cndmask_b32_e32 v27, v31, v27, vcc_lo
	s_delay_alu instid0(VALU_DEP_3) | instskip(NEXT) | instid1(VALU_DEP_3)
	v_cmp_lt_u32_e64 s1, 63, v22
	v_cndmask_b32_e64 v42, 0, 0xffffffc0, s2
	s_delay_alu instid0(VALU_DEP_3) | instskip(NEXT) | instid1(VALU_DEP_3)
	v_alignbit_b32 v24, v24, v27, 30
	v_cndmask_b32_e64 v41, 0, 0xffffffc0, s1
	v_sub_nc_u32_e32 v40, 0, v48
	v_alignbit_b32 v20, v27, v20, 30
	v_dual_cndmask_b32 v14, v32, v14, s1 :: v_dual_cndmask_b32 v32, v26, v32, s1
	v_cndmask_b32_e64 v28, v28, v34, s1
	s_delay_alu instid0(VALU_DEP_4) | instskip(SKIP_2) | instid1(VALU_DEP_3)
	v_dual_add_nc_u32 v22, v41, v22 :: v_dual_bitop2_b32 v35, v35, v40 bitop3:0x14
	v_dual_add_nc_u32 v41, v42, v30 :: v_dual_bitop2_b32 v24, v24, v40 bitop3:0x14
	v_cndmask_b32_e64 v2, v16, v2, s1
	v_cmp_lt_u32_e32 vcc_lo, 31, v22
	s_delay_alu instid0(VALU_DEP_4) | instskip(NEXT) | instid1(VALU_DEP_4)
	v_clz_i32_u32_e32 v31, v35
	v_cmp_lt_u32_e64 s3, 31, v41
	v_dual_cndmask_b32 v16, v34, v16, s1 :: v_dual_mov_b32 v42, v19
	v_cndmask_b32_e64 v30, 0, 0xffffffe0, vcc_lo
	s_delay_alu instid0(VALU_DEP_4) | instskip(SKIP_3) | instid1(VALU_DEP_4)
	v_min_u32_e32 v27, 32, v31
	v_lshrrev_b32_e32 v31, 29, v0
	v_xor_b32_e32 v20, v20, v40
	v_cndmask_b32_e64 v44, 0, 0xffffffe0, s3
	v_dual_lshrrev_b32 v0, 30, v0 :: v_dual_sub_nc_u32 v40, 31, v27
	s_delay_alu instid0(VALU_DEP_4) | instskip(SKIP_1) | instid1(VALU_DEP_4)
	v_dual_lshlrev_b32 v19, 31, v31 :: v_dual_add_nc_u32 v22, v30, v22
	v_mad_nc_u64_u32 v[30:31], 0x3c439041, v6, v[42:43]
	v_add_nc_u32_e32 v49, v44, v41
	s_delay_alu instid0(VALU_DEP_4)
	v_alignbit_b32 v35, v35, v24, v40
	v_alignbit_b32 v20, v24, v20, v40
	v_or_b32_e32 v24, 0.5, v19
	v_lshlrev_b32_e32 v40, 23, v27
	v_or_b32_e32 v19, 0x33000000, v19
	v_cmp_lt_u32_e64 s5, 31, v49
	v_alignbit_b32 v42, v35, v20, 9
	s_delay_alu instid0(VALU_DEP_4) | instskip(SKIP_2) | instid1(VALU_DEP_4)
	v_dual_lshrrev_b32 v35, 9, v35 :: v_dual_sub_nc_u32 v24, v24, v40
	v_cmp_lt_u32_e64 s4, 31, v22
	v_cndmask_b32_e64 v26, v29, v26, s1
	v_clz_i32_u32_e32 v40, v42
	v_cmp_class_f32_e64 s1, v36, 0x1f8
	v_or_b32_e32 v24, v35, v24
	v_fma_f32 v35, 0xbfc90fda, v33, |v37|
	v_mov_b32_e32 v44, v31
	v_min_u32_e32 v43, 32, v40
	v_rndne_f32_e32 v31, v46
	s_delay_alu instid0(VALU_DEP_4) | instskip(NEXT) | instid1(VALU_DEP_4)
	v_dual_fmac_f32 v35, 0xb3a22168, v33 :: v_dual_add_nc_u32 v0, v48, v0
	v_mad_nc_u64_u32 v[40:41], 0xdb629599, v6, v[44:45]
	s_delay_alu instid0(VALU_DEP_4) | instskip(SKIP_3) | instid1(VALU_DEP_4)
	v_add_lshl_u32 v27, v43, v27, 23
	v_not_b32_e32 v43, v43
	v_fmac_f32_e32 v50, 0xb3a22168, v17
	v_fma_f32 v45, 0xbfc90fda, v31, |v38|
	v_sub_nc_u32_e32 v19, v19, v27
	s_delay_alu instid0(VALU_DEP_4) | instskip(SKIP_2) | instid1(VALU_DEP_3)
	v_alignbit_b32 v20, v42, v20, v43
	v_fmac_f32_e32 v35, 0xa7c234c4, v33
	v_cvt_i32_f32_e32 v33, v33
	v_dual_mov_b32 v46, v41 :: v_dual_lshrrev_b32 v20, 9, v20
	v_cndmask_b32_e64 v41, 0, 0xffffffe0, s5
	s_delay_alu instid0(VALU_DEP_2) | instskip(NEXT) | instid1(VALU_DEP_3)
	v_mad_nc_u64_u32 v[42:43], 0xf534ddc0, v6, v[46:47]
	v_or_b32_e32 v19, v19, v20
	v_mul_f32_e32 v44, 0x3fc90fda, v24
	v_fmac_f32_e32 v45, 0xb3a22168, v31
	s_delay_alu instid0(VALU_DEP_2) | instskip(NEXT) | instid1(VALU_DEP_1)
	v_fma_f32 v27, 0x3fc90fda, v24, -v44
	v_dual_mov_b32 v20, v43 :: v_dual_fmac_f32 v27, 0x33a22168, v24
	v_cndmask_b32_e64 v24, 0, 0xffffffe0, s4
	s_delay_alu instid0(VALU_DEP_4) | instskip(NEXT) | instid1(VALU_DEP_3)
	v_dual_fmac_f32 v50, 0xa7c234c4, v17 :: v_dual_fmac_f32 v45, 0xa7c234c4, v31
	v_mad_nc_u64_u32 v[20:21], 0xfc2757d1, v6, v[20:21]
	v_cvt_i32_f32_e32 v17, v17
	s_delay_alu instid0(VALU_DEP_4) | instskip(SKIP_3) | instid1(VALU_DEP_4)
	v_dual_add_nc_u32 v22, v24, v22 :: v_dual_add_nc_u32 v24, v41, v49
	v_fmac_f32_e32 v27, 0x3fc90fda, v19
	v_cndmask_b32_e32 v41, v14, v2, vcc_lo
	v_cndmask_b32_e32 v14, v16, v14, vcc_lo
	v_dual_sub_nc_u32 v19, 32, v22 :: v_dual_cndmask_b32 v0, v0, v17, s6
	s_delay_alu instid0(VALU_DEP_4) | instskip(SKIP_2) | instid1(VALU_DEP_4)
	v_add_f32_e32 v27, v44, v27
	v_dual_cndmask_b32 v16, v32, v16, vcc_lo :: v_dual_mov_b32 v2, v21
	v_sub_nc_u32_e32 v21, 32, v24
	v_dual_lshlrev_b32 v44, 30, v0 :: v_dual_bitop2_b32 v43, 1, v0 bitop3:0x40
	s_delay_alu instid0(VALU_DEP_4) | instskip(NEXT) | instid1(VALU_DEP_4)
	v_cndmask_b32_e64 v27, v27, v50, s6
	v_mad_nc_u64_u32 v[2:3], 0x4e441529, v6, v[2:3]
	v_dual_cndmask_b32 v17, v14, v41, s4 :: v_dual_cndmask_b32 v14, v16, v14, s4
	v_cvt_i32_f32_e32 v31, v31
	s_delay_alu instid0(VALU_DEP_4) | instskip(NEXT) | instid1(VALU_DEP_1)
	v_mul_f32_e32 v41, v27, v27
	v_fmaak_f32 v0, s7, v41, 0x3c0881c4
	v_fmaak_f32 v29, s12, v41, 0xbab64f3b
	s_delay_alu instid0(VALU_DEP_2) | instskip(SKIP_1) | instid1(VALU_DEP_3)
	v_fmaak_f32 v34, v41, v0, 0xbe2aaa9d
	v_dual_mov_b32 v0, v3 :: v_dual_cndmask_b32 v32, v28, v32, vcc_lo
	v_dual_cndmask_b32 v3, v26, v28 :: v_dual_fmaak_f32 v26, v41, v29, 0x3d2aabf7
	s_delay_alu instid0(VALU_DEP_3) | instskip(NEXT) | instid1(VALU_DEP_3)
	v_mul_f32_e32 v28, v41, v34
	v_mad_nc_u64_u32 v[0:1], 0xa2f9836e, v6, v[0:1]
	s_delay_alu instid0(VALU_DEP_4) | instskip(NEXT) | instid1(VALU_DEP_4)
	v_cndmask_b32_e64 v6, v32, v16, s4
	v_dual_cndmask_b32 v3, v3, v32, s4 :: v_dual_cndmask_b32 v34, v2, v42, s2
	v_alignbit_b32 v29, v14, v17, v19
	v_fmac_f32_e32 v27, v27, v28
	v_cndmask_b32_e64 v32, v20, v40, s2
	v_cmp_eq_u32_e32 vcc_lo, 0, v22
	v_and_b32_e32 v16, 0x80000000, v44
	v_cndmask_b32_e64 v1, v1, v2, s2
	v_alignbit_b32 v28, v3, v6, v19
	v_alignbit_b32 v19, v6, v14, v19
	s_delay_alu instid0(VALU_DEP_1) | instskip(NEXT) | instid1(VALU_DEP_3)
	v_dual_cndmask_b32 v0, v0, v20, s2 :: v_dual_cndmask_b32 v6, v19, v6, vcc_lo
	v_dual_cndmask_b32 v2, v28, v3, vcc_lo :: v_dual_cndmask_b32 v3, v42, v30, s2
	s_delay_alu instid0(VALU_DEP_2) | instskip(SKIP_1) | instid1(VALU_DEP_3)
	v_dual_cndmask_b32 v20, v0, v34, s3 :: v_dual_cndmask_b32 v0, v1, v0, s3
	v_dual_cndmask_b32 v1, v34, v32, s3 :: v_dual_cndmask_b32 v14, v29, v14, vcc_lo
	v_cndmask_b32_e64 v19, v32, v3, s3
	s_delay_alu instid0(VALU_DEP_4) | instskip(NEXT) | instid1(VALU_DEP_4)
	v_bfe_u32 v22, v2, 29, 1
	v_cndmask_b32_e64 v0, v0, v20, s5
	s_delay_alu instid0(VALU_DEP_4) | instskip(SKIP_1) | instid1(VALU_DEP_4)
	v_cndmask_b32_e64 v20, v20, v1, s5
	v_alignbit_b32 v28, v2, v6, 30
	v_dual_cndmask_b32 v1, v1, v19, s5 :: v_dual_sub_nc_u32 v32, 0, v22
	v_cmp_eq_u32_e32 vcc_lo, 0, v24
	s_delay_alu instid0(VALU_DEP_4) | instskip(SKIP_1) | instid1(VALU_DEP_4)
	v_alignbit_b32 v30, v0, v20, v21
	v_cndmask_b32_e64 v18, v40, v18, s2
	v_alignbit_b32 v34, v20, v1, v21
	v_alignbit_b32 v6, v6, v14, 30
	;; [unrolled: 1-line block ×3, first 2 shown]
	v_cndmask_b32_e32 v0, v30, v0, vcc_lo
	v_dual_cndmask_b32 v3, v3, v18, s3 :: v_dual_bitop2_b32 v24, v28, v32 bitop3:0x14
	v_dual_cndmask_b32 v18, v34, v20 :: v_dual_lshrrev_b32 v29, 29, v2
	s_delay_alu instid0(VALU_DEP_3) | instskip(NEXT) | instid1(VALU_DEP_3)
	v_bfe_u32 v20, v0, 29, 1
	v_clz_i32_u32_e32 v17, v24
	s_delay_alu instid0(VALU_DEP_4) | instskip(NEXT) | instid1(VALU_DEP_4)
	v_cndmask_b32_e64 v3, v19, v3, s5
	v_alignbit_b32 v19, v0, v18, 30
	v_lshlrev_b32_e32 v29, 31, v29
	s_add_nc_u64 s[4:5], s[8:9], 8
	v_min_u32_e32 v17, 32, v17
	v_sub_nc_u32_e32 v28, 0, v20
	v_alignbit_b32 v21, v1, v3, v21
	v_dual_lshrrev_b32 v2, 30, v2 :: v_dual_bitop2_b32 v6, v6, v32 bitop3:0x14
	s_delay_alu instid0(VALU_DEP_3) | instskip(SKIP_1) | instid1(VALU_DEP_4)
	v_dual_sub_nc_u32 v30, 31, v17 :: v_dual_bitop2_b32 v19, v19, v28 bitop3:0x14
	v_dual_lshlrev_b32 v34, 23, v17 :: v_dual_bitop2_b32 v14, v14, v32 bitop3:0x14
	v_cndmask_b32_e32 v1, v21, v1, vcc_lo
	s_delay_alu instid0(VALU_DEP_3) | instskip(NEXT) | instid1(VALU_DEP_4)
	v_alignbit_b32 v24, v24, v6, v30
	v_clz_i32_u32_e32 v21, v19
	v_cmp_eq_u32_e32 vcc_lo, 0, v43
	v_alignbit_b32 v6, v6, v14, v30
	v_alignbit_b32 v14, v18, v1, 30
	;; [unrolled: 1-line block ×3, first 2 shown]
	v_min_u32_e32 v18, 32, v21
	v_or_b32_e32 v32, 0.5, v29
	v_alignbit_b32 v21, v24, v6, 9
	v_xor_b32_e32 v14, v14, v28
	s_delay_alu instid0(VALU_DEP_4) | instskip(NEXT) | instid1(VALU_DEP_4)
	v_dual_sub_nc_u32 v30, 31, v18 :: v_dual_bitop2_b32 v1, v1, v28 bitop3:0x14
	v_dual_sub_nc_u32 v3, v32, v34 :: v_dual_lshrrev_b32 v24, 9, v24
	s_delay_alu instid0(VALU_DEP_4) | instskip(SKIP_2) | instid1(VALU_DEP_4)
	v_clz_i32_u32_e32 v32, v21
	v_lshrrev_b32_e32 v28, 29, v0
	v_or_b32_e32 v29, 0x33000000, v29
	v_dual_lshrrev_b32 v0, 30, v0 :: v_dual_bitop2_b32 v3, v24, v3 bitop3:0x54
	s_delay_alu instid0(VALU_DEP_4)
	v_min_u32_e32 v24, 32, v32
	v_lshlrev_b32_e32 v32, 23, v18
	v_alignbit_b32 v19, v19, v14, v30
	v_alignbit_b32 v1, v14, v1, v30
	v_fmaak_f32 v26, v41, v26, 0xbf000004
	v_lshlrev_b32_e32 v14, 31, v28
	v_add_lshl_u32 v17, v24, v17, 23
	v_mul_f32_e32 v34, 0x3fc90fda, v3
	v_alignbit_b32 v28, v19, v1, 9
	v_lshrrev_b32_e32 v19, 9, v19
	v_fma_f32 v26, v41, v26, 1.0
	v_not_b32_e32 v41, v24
	v_or_b32_e32 v30, 0.5, v14
	v_clz_i32_u32_e32 v40, v28
	v_sub_nc_u32_e32 v17, v29, v17
	v_or_b32_e32 v14, 0x33000000, v14
	v_alignbit_b32 v6, v21, v6, v41
	v_sub_nc_u32_e32 v30, v30, v32
	v_min_u32_e32 v24, 32, v40
	v_fma_f32 v21, 0x3fc90fda, v3, -v34
	s_delay_alu instid0(VALU_DEP_4) | instskip(NEXT) | instid1(VALU_DEP_3)
	v_lshrrev_b32_e32 v6, 9, v6
	v_not_b32_e32 v29, v24
	v_add_lshl_u32 v18, v24, v18, 23
	s_delay_alu instid0(VALU_DEP_4) | instskip(NEXT) | instid1(VALU_DEP_4)
	v_fmac_f32_e32 v21, 0x33a22168, v3
	v_dual_cndmask_b32 v17, v26, v27, vcc_lo :: v_dual_bitop2_b32 v3, v17, v6 bitop3:0x54
	s_delay_alu instid0(VALU_DEP_4) | instskip(SKIP_1) | instid1(VALU_DEP_3)
	v_alignbit_b32 v1, v28, v1, v29
	v_or_b32_e32 v19, v19, v30
	v_dual_fmac_f32 v21, 0x3fc90fda, v3 :: v_dual_sub_nc_u32 v14, v14, v18
	s_delay_alu instid0(VALU_DEP_3) | instskip(NEXT) | instid1(VALU_DEP_3)
	v_dual_cndmask_b32 v3, -v27, v26, vcc_lo :: v_dual_lshrrev_b32 v1, 9, v1
	v_mul_f32_e32 v30, 0x3fc90fda, v19
	v_cmp_gt_f32_e64 vcc_lo, 0x48000000, |v37|
	v_mov_b32_e32 v27, 0
	s_delay_alu instid0(VALU_DEP_4) | instskip(SKIP_4) | instid1(VALU_DEP_3)
	v_bitop3_b32 v3, v44, v3, 0x80000000 bitop3:0x6c
	v_or_b32_e32 v1, v14, v1
	v_fma_f32 v6, 0x3fc90fda, v19, -v30
	v_add_f32_e32 v14, v34, v21
	v_xor_b32_e32 v17, v36, v17
	v_fmac_f32_e32 v6, 0x33a22168, v19
	s_delay_alu instid0(VALU_DEP_1) | instskip(NEXT) | instid1(VALU_DEP_4)
	v_dual_fmac_f32 v6, 0x3fc90fda, v1 :: v_dual_add_nc_u32 v1, v22, v2
	v_cndmask_b32_e32 v2, v14, v35, vcc_lo
	s_delay_alu instid0(VALU_DEP_4) | instskip(NEXT) | instid1(VALU_DEP_3)
	v_xor3_b32 v14, v17, v39, v16
	v_dual_cndmask_b32 v1, v1, v33 :: v_dual_add_f32 v6, v30, v6
	v_cmp_gt_f32_e64 vcc_lo, 0x48000000, |v38|
	s_delay_alu instid0(VALU_DEP_4) | instskip(NEXT) | instid1(VALU_DEP_4)
	v_mul_f32_e32 v16, v2, v2
	v_cndmask_b32_e64 v21, 0x7fc00000, v14, s1
	s_delay_alu instid0(VALU_DEP_4) | instskip(SKIP_1) | instid1(VALU_DEP_4)
	v_dual_lshlrev_b32 v14, 30, v1 :: v_dual_bitop2_b32 v1, 1, v1 bitop3:0x40
	v_cndmask_b32_e32 v6, v6, v45, vcc_lo
	v_fmaak_f32 v18, s7, v16, 0x3c0881c4
	v_fmaak_f32 v19, s12, v16, 0xbab64f3b
	s_delay_alu instid0(VALU_DEP_4) | instskip(NEXT) | instid1(VALU_DEP_4)
	v_and_b32_e32 v22, 0x80000000, v14
	v_mul_f32_e32 v17, v6, v6
	s_delay_alu instid0(VALU_DEP_4) | instskip(NEXT) | instid1(VALU_DEP_1)
	v_fmaak_f32 v18, v16, v18, 0xbe2aaa9d
	v_dual_fmaak_f32 v19, v16, v19, 0x3d2aabf7 :: v_dual_mul_f32 v18, v16, v18
	s_delay_alu instid0(VALU_DEP_1) | instskip(NEXT) | instid1(VALU_DEP_2)
	v_fmaak_f32 v19, v16, v19, 0xbf000004
	v_dual_add_nc_u32 v0, v20, v0 :: v_dual_fmac_f32 v2, v2, v18
	s_delay_alu instid0(VALU_DEP_2) | instskip(NEXT) | instid1(VALU_DEP_2)
	v_fma_f32 v16, v16, v19, 1.0
	v_cndmask_b32_e32 v0, v0, v31, vcc_lo
	v_cmp_eq_u32_e32 vcc_lo, 0, v1
	s_delay_alu instid0(VALU_DEP_3) | instskip(SKIP_1) | instid1(VALU_DEP_2)
	v_dual_cndmask_b32 v1, v16, v2, vcc_lo :: v_dual_cndmask_b32 v2, -v2, v16, vcc_lo
	v_cmp_class_f32_e64 vcc_lo, v37, 0x1f8
	v_xor_b32_e32 v1, v37, v1
	s_delay_alu instid0(VALU_DEP_3) | instskip(NEXT) | instid1(VALU_DEP_2)
	v_bitop3_b32 v2, v14, v2, 0x80000000 bitop3:0x6c
	v_xor3_b32 v1, v1, v23, v22
	s_delay_alu instid0(VALU_DEP_2) | instskip(SKIP_3) | instid1(VALU_DEP_2)
	v_cndmask_b32_e32 v2, 0x7fc00000, v2, vcc_lo
	v_fmaak_f32 v24, s7, v17, 0x3c0881c4
	v_fmaak_f32 v26, s12, v17, 0xbab64f3b
	s_mov_b64 s[6:7], 0
	v_fmaak_f32 v20, v17, v24, 0xbe2aaa9d
	s_delay_alu instid0(VALU_DEP_2) | instskip(NEXT) | instid1(VALU_DEP_2)
	v_fmaak_f32 v24, v17, v26, 0x3d2aabf7
	v_mul_f32_e32 v20, v17, v20
	s_delay_alu instid0(VALU_DEP_2) | instskip(SKIP_1) | instid1(VALU_DEP_3)
	v_fmaak_f32 v24, v17, v24, 0xbf000004
	v_dual_lshlrev_b32 v0, 30, v0 :: v_dual_bitop2_b32 v18, 1, v0 bitop3:0x40
	v_fmac_f32_e32 v6, v6, v20
	s_delay_alu instid0(VALU_DEP_3) | instskip(NEXT) | instid1(VALU_DEP_3)
	v_fma_f32 v17, v17, v24, 1.0
	v_cmp_eq_u32_e64 s2, 0, v18
	s_delay_alu instid0(VALU_DEP_4) | instskip(NEXT) | instid1(VALU_DEP_2)
	v_and_b32_e32 v16, 0x80000000, v0
	v_dual_cndmask_b32 v18, v17, v6, s2 :: v_dual_cndmask_b32 v6, -v6, v17, s2
	v_cmp_class_f32_e64 s2, v38, 0x1f8
	s_delay_alu instid0(VALU_DEP_2) | instskip(NEXT) | instid1(VALU_DEP_3)
	v_xor_b32_e32 v17, v38, v18
	v_bitop3_b32 v0, v0, v6, 0x80000000 bitop3:0x6c
	s_delay_alu instid0(VALU_DEP_2) | instskip(NEXT) | instid1(VALU_DEP_2)
	v_xor3_b32 v6, v17, v15, v16
	v_cndmask_b32_e64 v0, 0x7fc00000, v0, s2
	v_cndmask_b32_e32 v15, 0x7fc00000, v1, vcc_lo
	v_cndmask_b32_e64 v1, 0x7fc00000, v3, s1
	v_mul_f32_e32 v17, v21, v2
	v_cndmask_b32_e64 v3, 0x7fc00000, v6, s2
	s_delay_alu instid0(VALU_DEP_4) | instskip(NEXT) | instid1(VALU_DEP_4)
	v_dual_mul_f32 v14, v2, v0 :: v_dual_mul_f32 v20, v21, v15
	v_dual_mul_f32 v22, v1, v15 :: v_dual_mul_f32 v19, v1, v2
	s_delay_alu instid0(VALU_DEP_3) | instskip(SKIP_1) | instid1(VALU_DEP_3)
	v_dual_mul_f32 v16, v1, v3 :: v_dual_mul_f32 v6, v1, v0
	v_mul_f32_e32 v24, v2, v3
	v_dual_mul_f32 v18, v22, v0 :: v_dual_mul_f32 v1, v21, v0
	s_delay_alu instid0(VALU_DEP_3) | instskip(NEXT) | instid1(VALU_DEP_2)
	v_dual_fma_f32 v16, v20, v0, -v16 :: v_dual_fmac_f32 v6, v20, v3
	v_dual_fmac_f32 v18, v21, v3 :: v_dual_fma_f32 v26, v22, v3, -v1
.LBB0_4:                                ; =>This Loop Header: Depth=1
                                        ;     Child Loop BB0_5 Depth 2
	s_lshl_b64 s[2:3], s[6:7], 4
	s_mov_b64 s[8:9], s[4:5]
	s_add_nc_u64 s[2:3], s[10:11], s[2:3]
	global_load_b128 v[20:23], v7, s[2:3]
	s_wait_loadcnt 0x0
	v_pk_fma_f32 v[28:29], v[14:15], v[20:21], v[12:13] op_sel_hi:[1,0,1] neg_lo:[1,0,0] neg_hi:[1,0,0]
	v_lshlrev_b32_e32 v0, 4, v23
	v_pk_fma_f32 v[30:31], v[14:15], v[20:21], v[12:13]
	s_delay_alu instid0(VALU_DEP_2) | instskip(NEXT) | instid1(VALU_DEP_1)
	v_dual_mov_b32 v31, v29 :: v_dual_add_nc_u32 v0, 0, v0
	v_pk_fma_f32 v[28:29], v[16:17], v[20:21], v[30:31] op_sel:[0,1,0]
	ds_load_b128 v[0:3], v0
	s_wait_dscnt 0x0
	v_readfirstlane_b32 s3, v2
	v_readfirstlane_b32 s1, v0
	v_dual_fma_f32 v0, v24, v20, v25 :: v_dual_mov_b32 v2, v3
	s_cmp_gt_f32 s3, 0
	s_delay_alu instid0(VALU_DEP_1)
	v_fmac_f32_e32 v0, v6, v21
	v_mov_b64_e32 v[20:21], v[8:9]
	s_cselect_b32 s12, -1, 0
	s_cmp_eq_u32 s1, 0x46
	s_cselect_b32 s13, -1, 0
	s_cmp_eq_u32 s1, 0x45
	v_fmac_f32_e32 v0, v26, v22
	s_cselect_b32 s14, -1, 0
	s_cmp_lt_f32 s3, 0
	v_pk_fma_f32 v[22:23], v[18:19], v[22:23], v[28:29] op_sel_hi:[1,0,1]
	s_cselect_b32 s15, -1, 0
	s_delay_alu instid0(SALU_CYCLE_1)
	s_and_b32 s1, s15, exec_lo
	s_cselect_b32 s18, 0x40b00000, 1.0
	s_cselect_b32 s19, 1.0, 0xff7fffff
	s_xor_b32 s20, s3, 0x80000000
.LBB0_5:                                ;   Parent Loop BB0_4 Depth=1
                                        ; =>  This Inner Loop Header: Depth=2
	global_load_b128 v[28:31], v7, s[8:9] offset:-8
	v_add_nc_u64_e32 v[20:21], -1, v[20:21]
	s_wait_xcnt 0x0
	s_add_nc_u64 s[8:9], s[8:9], 16
	s_wait_loadcnt 0x0
	v_dual_sub_f32 v34, v0, v29 :: v_dual_lshlrev_b32 v3, 4, v31
	s_delay_alu instid0(VALU_DEP_1) | instskip(NEXT) | instid1(VALU_DEP_1)
	v_dual_mov_b32 v29, v30 :: v_dual_add_nc_u32 v3, 0, v3
	v_pk_add_f32 v[32:33], v[22:23], v[28:29] neg_lo:[0,1] neg_hi:[0,1]
	ds_load_b128 v[28:31], v3
	v_pk_mul_f32 v[32:33], v[32:33], v[32:33]
	s_delay_alu instid0(VALU_DEP_1) | instskip(NEXT) | instid1(VALU_DEP_1)
	v_fma_f32 v3, v34, v34, v32
	v_add_f32_e32 v3, v3, v33
	s_delay_alu instid0(VALU_DEP_1) | instskip(SKIP_4) | instid1(VALU_DEP_3)
	v_cmp_gt_f32_e32 vcc_lo, 0xf800000, v3
	s_wait_dscnt 0x0
	v_add_f32_e32 v33, v1, v29
	v_readfirstlane_b32 s21, v30
	v_readfirstlane_b32 s2, v28
	v_div_scale_f32 v30, s1, 1.0, v33, 1.0
	v_mul_f32_e32 v32, 0x4f800000, v3
	v_div_scale_f32 v29, null, v33, v33, 1.0
	s_cmp_eq_u32 s2, 0x46
	v_cndmask_b32_e32 v3, v3, v32, vcc_lo
	v_mov_b32_e32 v28, v31
	v_xor_b32_e32 v32, 0x80000000, v29
	v_rcp_f32_e32 v34, v29
	s_cselect_b32 s22, -1, 0
	v_sqrt_f32_e32 v31, v3
	s_and_b32 s22, s22, s13
	s_delay_alu instid0(SALU_CYCLE_1)
	s_and_b32 s22, s22, exec_lo
	s_cselect_b32 s22, 4.0, 2.0
	s_cselect_b32 s23, 0x3e800000, 0.5
	s_cmp_eq_u32 s2, 0x45
	v_nop
	v_dual_add_nc_u32 v29, -1, v31 :: v_dual_add_nc_u32 v35, 1, v31
	v_fma_f32 v37, v32, v34, 1.0
	s_cselect_b32 s24, -1, 0
	s_delay_alu instid0(VALU_DEP_2) | instskip(NEXT) | instid1(VALU_DEP_2)
	v_dual_fma_f32 v36, -v29, v31, v3 :: v_dual_fma_f32 v38, -v35, v31, v3
	v_fmac_f32_e32 v34, v37, v34
	s_delay_alu instid0(VALU_DEP_2) | instskip(NEXT) | instid1(VALU_DEP_1)
	v_cmp_ge_f32_e64 s2, 0, v36
	v_cndmask_b32_e64 v29, v31, v29, s2
	s_delay_alu instid0(VALU_DEP_4) | instskip(NEXT) | instid1(VALU_DEP_1)
	v_cmp_lt_f32_e64 s2, 0, v38
	v_dual_mul_f32 v31, v30, v34 :: v_dual_cndmask_b32 v29, v29, v35, s2
	s_delay_alu instid0(VALU_DEP_1) | instskip(NEXT) | instid1(VALU_DEP_1)
	v_mul_f32_e32 v35, 0x37800000, v29
	v_cndmask_b32_e32 v29, v29, v35, vcc_lo
	v_cmp_class_f32_e64 vcc_lo, v3, 0x260
	s_delay_alu instid0(VALU_DEP_2) | instskip(NEXT) | instid1(VALU_DEP_1)
	v_cndmask_b32_e32 v35, v29, v3, vcc_lo
	v_sub_f32_e32 v36, v35, v33
	s_delay_alu instid0(VALU_DEP_1)
	v_cmp_gt_f32_e32 vcc_lo, s22, v36
	s_or_b32 s22, s24, s14
	s_cmp_gt_f32 s21, 0
	v_fma_f32 v29, -v36, s23, 1.0
	v_cmp_gt_f32_e64 s2, 0, v36
	v_cndmask_b32_e64 v3, 0, 1.0, vcc_lo
	s_cselect_b32 s23, -1, 0
	s_cmp_neq_f32 s21, 0
	s_mov_b32 vcc_lo, s1
	v_cndmask_b32_e64 v29, v29, 1.0, s2
	v_cndmask_b32_e64 v37, 0, 0x42980000, s2
	s_cselect_b32 s24, -1, 0
	s_cmp_lt_f32 s21, 0
	s_delay_alu instid0(VALU_DEP_2) | instskip(SKIP_1) | instid1(SALU_CYCLE_1)
	v_pk_mul_f32 v[28:29], v[2:3], v[28:29]
	s_cselect_b32 s25, -1, 0
	s_and_b32 s26, s25, exec_lo
	s_cselect_b32 s26, s18, s19
	s_delay_alu instid0(VALU_DEP_1) | instskip(SKIP_3) | instid1(VALU_DEP_3)
	v_mul_f32_e32 v3, v28, v29
	v_div_scale_f32 v28, null, s26, s26, 1.0
	v_fma_f32 v29, v32, v31, v30
	s_and_b32 s1, s25, s12
	v_cndmask_b32_e64 v3, v3, -|v3|, s22
	s_xor_b32 s22, s21, 0x80000000
	s_and_b32 s1, s1, exec_lo
	v_fmac_f32_e32 v31, v29, v34
	v_rcp_f32_e32 v29, v28
	v_nop
	v_xor_b32_e32 v28, 0x80000000, v28
	v_cmp_gt_f32_e64 s1, s26, v36
	s_cselect_b32 s21, s22, s21
	v_fmac_f32_e32 v30, v32, v31
	s_and_b32 s22, s23, s15
	v_fma_f32 v32, v28, v29, 1.0
	s_and_b32 s22, s22, exec_lo
	s_cselect_b32 s22, s20, s3
	s_and_b32 s1, s24, s1
	s_delay_alu instid0(VALU_DEP_1) | instskip(SKIP_2) | instid1(VALU_DEP_2)
	v_fmac_f32_e32 v29, v32, v29
	v_div_fmas_f32 v30, v30, v34, v31
	v_div_scale_f32 v31, vcc_lo, 1.0, s26, 1.0
	v_div_fixup_f32 v30, v30, v33, 1.0
	s_delay_alu instid0(VALU_DEP_2) | instskip(NEXT) | instid1(VALU_DEP_2)
	v_mul_f32_e32 v32, v31, v29
	v_fma_f32 v30, -v35, v30, 1.0
	s_delay_alu instid0(VALU_DEP_2) | instskip(NEXT) | instid1(VALU_DEP_2)
	v_fma_f32 v33, v28, v32, v31
	v_fmac_f32_e32 v27, v30, v37
	s_delay_alu instid0(VALU_DEP_1) | instskip(NEXT) | instid1(VALU_DEP_1)
	v_dual_fmac_f32 v32, v33, v29 :: v_dual_fmac_f32 v27, 0x42340000, v3
	v_fmac_f32_e32 v31, v28, v32
	s_delay_alu instid0(VALU_DEP_1) | instskip(SKIP_3) | instid1(VALU_DEP_3)
	v_div_fmas_f32 v28, v31, v29, v32
	v_cndmask_b32_e64 v29, 0, 1.0, s1
	s_add_f32 s1, s21, s22
	v_cmp_ne_u64_e32 vcc_lo, 0, v[20:21]
	v_div_fixup_f32 v28, v28, s26, 1.0
	s_delay_alu instid0(VALU_DEP_3) | instid1(SALU_CYCLE_1)
	v_mul_f32_e32 v3, s1, v29
	s_delay_alu instid0(VALU_DEP_2) | instskip(NEXT) | instid1(VALU_DEP_1)
	v_fma_f32 v28, -v36, v28, 1.0
	v_cndmask_b32_e64 v28, v28, 1.0, s2
	s_delay_alu instid0(VALU_DEP_1)
	v_fmac_f32_e32 v27, v3, v28
	s_cbranch_vccnz .LBB0_5
; %bb.6:                                ;   in Loop: Header=BB0_4 Depth=1
	s_add_nc_u64 s[6:7], s[6:7], 1
	s_delay_alu instid0(SALU_CYCLE_1)
	v_cmp_ne_u64_e32 vcc_lo, s[6:7], v[10:11]
	s_cbranch_vccnz .LBB0_4
; %bb.7:
	s_and_saveexec_b32 s1, s0
	s_cbranch_execz .LBB0_9
; %bb.8:
	v_mul_f32_e32 v2, 0.5, v27
	v_lshl_add_u64 v[0:1], v[4:5], 2, s[16:17]
	global_store_b32 v[0:1], v2, off
.LBB0_9:
	s_endpgm
	.section	.rodata,"a",@progbits
	.p2align	6, 0x0
	.amdhsa_kernel _Z11fasten_mainmmmmPK4AtomS1_PKfS3_S3_S3_S3_S3_PK8FFParamsPf
		.amdhsa_group_segment_fixed_size 0
		.amdhsa_private_segment_fixed_size 0
		.amdhsa_kernarg_size 368
		.amdhsa_user_sgpr_count 2
		.amdhsa_user_sgpr_dispatch_ptr 0
		.amdhsa_user_sgpr_queue_ptr 0
		.amdhsa_user_sgpr_kernarg_segment_ptr 1
		.amdhsa_user_sgpr_dispatch_id 0
		.amdhsa_user_sgpr_kernarg_preload_length 0
		.amdhsa_user_sgpr_kernarg_preload_offset 0
		.amdhsa_user_sgpr_private_segment_size 0
		.amdhsa_wavefront_size32 1
		.amdhsa_uses_dynamic_stack 0
		.amdhsa_enable_private_segment 0
		.amdhsa_system_sgpr_workgroup_id_x 1
		.amdhsa_system_sgpr_workgroup_id_y 0
		.amdhsa_system_sgpr_workgroup_id_z 0
		.amdhsa_system_sgpr_workgroup_info 0
		.amdhsa_system_vgpr_workitem_id 0
		.amdhsa_next_free_vgpr 52
		.amdhsa_next_free_sgpr 32
		.amdhsa_named_barrier_count 0
		.amdhsa_reserve_vcc 1
		.amdhsa_float_round_mode_32 0
		.amdhsa_float_round_mode_16_64 0
		.amdhsa_float_denorm_mode_32 3
		.amdhsa_float_denorm_mode_16_64 3
		.amdhsa_fp16_overflow 0
		.amdhsa_memory_ordered 1
		.amdhsa_forward_progress 1
		.amdhsa_inst_pref_size 34
		.amdhsa_round_robin_scheduling 0
		.amdhsa_exception_fp_ieee_invalid_op 0
		.amdhsa_exception_fp_denorm_src 0
		.amdhsa_exception_fp_ieee_div_zero 0
		.amdhsa_exception_fp_ieee_overflow 0
		.amdhsa_exception_fp_ieee_underflow 0
		.amdhsa_exception_fp_ieee_inexact 0
		.amdhsa_exception_int_div_zero 0
	.end_amdhsa_kernel
	.text
.Lfunc_end0:
	.size	_Z11fasten_mainmmmmPK4AtomS1_PKfS3_S3_S3_S3_S3_PK8FFParamsPf, .Lfunc_end0-_Z11fasten_mainmmmmPK4AtomS1_PKfS3_S3_S3_S3_S3_PK8FFParamsPf
                                        ; -- End function
	.set _Z11fasten_mainmmmmPK4AtomS1_PKfS3_S3_S3_S3_S3_PK8FFParamsPf.num_vgpr, 52
	.set _Z11fasten_mainmmmmPK4AtomS1_PKfS3_S3_S3_S3_S3_PK8FFParamsPf.num_agpr, 0
	.set _Z11fasten_mainmmmmPK4AtomS1_PKfS3_S3_S3_S3_S3_PK8FFParamsPf.numbered_sgpr, 32
	.set _Z11fasten_mainmmmmPK4AtomS1_PKfS3_S3_S3_S3_S3_PK8FFParamsPf.num_named_barrier, 0
	.set _Z11fasten_mainmmmmPK4AtomS1_PKfS3_S3_S3_S3_S3_PK8FFParamsPf.private_seg_size, 0
	.set _Z11fasten_mainmmmmPK4AtomS1_PKfS3_S3_S3_S3_S3_PK8FFParamsPf.uses_vcc, 1
	.set _Z11fasten_mainmmmmPK4AtomS1_PKfS3_S3_S3_S3_S3_PK8FFParamsPf.uses_flat_scratch, 0
	.set _Z11fasten_mainmmmmPK4AtomS1_PKfS3_S3_S3_S3_S3_PK8FFParamsPf.has_dyn_sized_stack, 0
	.set _Z11fasten_mainmmmmPK4AtomS1_PKfS3_S3_S3_S3_S3_PK8FFParamsPf.has_recursion, 0
	.set _Z11fasten_mainmmmmPK4AtomS1_PKfS3_S3_S3_S3_S3_PK8FFParamsPf.has_indirect_call, 0
	.section	.AMDGPU.csdata,"",@progbits
; Kernel info:
; codeLenInByte = 4300
; TotalNumSgprs: 34
; NumVgprs: 52
; ScratchSize: 0
; MemoryBound: 0
; FloatMode: 240
; IeeeMode: 1
; LDSByteSize: 0 bytes/workgroup (compile time only)
; SGPRBlocks: 0
; VGPRBlocks: 3
; NumSGPRsForWavesPerEU: 34
; NumVGPRsForWavesPerEU: 52
; NamedBarCnt: 0
; Occupancy: 16
; WaveLimiterHint : 0
; COMPUTE_PGM_RSRC2:SCRATCH_EN: 0
; COMPUTE_PGM_RSRC2:USER_SGPR: 2
; COMPUTE_PGM_RSRC2:TRAP_HANDLER: 0
; COMPUTE_PGM_RSRC2:TGID_X_EN: 1
; COMPUTE_PGM_RSRC2:TGID_Y_EN: 0
; COMPUTE_PGM_RSRC2:TGID_Z_EN: 0
; COMPUTE_PGM_RSRC2:TIDIG_COMP_CNT: 0
	.text
	.p2alignl 7, 3214868480
	.fill 96, 4, 3214868480
	.section	.AMDGPU.gpr_maximums,"",@progbits
	.set amdgpu.max_num_vgpr, 0
	.set amdgpu.max_num_agpr, 0
	.set amdgpu.max_num_sgpr, 0
	.text
	.type	__hip_cuid_dba0b1b7533fbc37,@object ; @__hip_cuid_dba0b1b7533fbc37
	.section	.bss,"aw",@nobits
	.globl	__hip_cuid_dba0b1b7533fbc37
__hip_cuid_dba0b1b7533fbc37:
	.byte	0                               ; 0x0
	.size	__hip_cuid_dba0b1b7533fbc37, 1

	.ident	"AMD clang version 22.0.0git (https://github.com/RadeonOpenCompute/llvm-project roc-7.2.4 26084 f58b06dce1f9c15707c5f808fd002e18c2accf7e)"
	.section	".note.GNU-stack","",@progbits
	.addrsig
	.addrsig_sym __hip_cuid_dba0b1b7533fbc37
	.amdgpu_metadata
---
amdhsa.kernels:
  - .args:
      - .offset:         0
        .size:           8
        .value_kind:     by_value
      - .offset:         8
        .size:           8
        .value_kind:     by_value
      - .offset:         16
        .size:           8
        .value_kind:     by_value
      - .offset:         24
        .size:           8
        .value_kind:     by_value
      - .actual_access:  read_only
        .address_space:  global
        .offset:         32
        .size:           8
        .value_kind:     global_buffer
      - .actual_access:  read_only
        .address_space:  global
        .offset:         40
        .size:           8
        .value_kind:     global_buffer
      - .actual_access:  read_only
        .address_space:  global
        .offset:         48
        .size:           8
        .value_kind:     global_buffer
      - .actual_access:  read_only
        .address_space:  global
        .offset:         56
        .size:           8
        .value_kind:     global_buffer
      - .actual_access:  read_only
        .address_space:  global
        .offset:         64
        .size:           8
        .value_kind:     global_buffer
      - .actual_access:  read_only
        .address_space:  global
        .offset:         72
        .size:           8
        .value_kind:     global_buffer
      - .actual_access:  read_only
        .address_space:  global
        .offset:         80
        .size:           8
        .value_kind:     global_buffer
      - .actual_access:  read_only
        .address_space:  global
        .offset:         88
        .size:           8
        .value_kind:     global_buffer
      - .actual_access:  read_only
        .address_space:  global
        .offset:         96
        .size:           8
        .value_kind:     global_buffer
      - .actual_access:  write_only
        .address_space:  global
        .offset:         104
        .size:           8
        .value_kind:     global_buffer
      - .offset:         112
        .size:           4
        .value_kind:     hidden_block_count_x
      - .offset:         116
        .size:           4
        .value_kind:     hidden_block_count_y
      - .offset:         120
        .size:           4
        .value_kind:     hidden_block_count_z
      - .offset:         124
        .size:           2
        .value_kind:     hidden_group_size_x
      - .offset:         126
        .size:           2
        .value_kind:     hidden_group_size_y
      - .offset:         128
        .size:           2
        .value_kind:     hidden_group_size_z
      - .offset:         130
        .size:           2
        .value_kind:     hidden_remainder_x
      - .offset:         132
        .size:           2
        .value_kind:     hidden_remainder_y
      - .offset:         134
        .size:           2
        .value_kind:     hidden_remainder_z
      - .offset:         152
        .size:           8
        .value_kind:     hidden_global_offset_x
      - .offset:         160
        .size:           8
        .value_kind:     hidden_global_offset_y
      - .offset:         168
        .size:           8
        .value_kind:     hidden_global_offset_z
      - .offset:         176
        .size:           2
        .value_kind:     hidden_grid_dims
      - .offset:         232
        .size:           4
        .value_kind:     hidden_dynamic_lds_size
    .group_segment_fixed_size: 0
    .kernarg_segment_align: 8
    .kernarg_segment_size: 368
    .language:       OpenCL C
    .language_version:
      - 2
      - 0
    .max_flat_workgroup_size: 1024
    .name:           _Z11fasten_mainmmmmPK4AtomS1_PKfS3_S3_S3_S3_S3_PK8FFParamsPf
    .private_segment_fixed_size: 0
    .sgpr_count:     34
    .sgpr_spill_count: 0
    .symbol:         _Z11fasten_mainmmmmPK4AtomS1_PKfS3_S3_S3_S3_S3_PK8FFParamsPf.kd
    .uniform_work_group_size: 1
    .uses_dynamic_stack: false
    .vgpr_count:     52
    .vgpr_spill_count: 0
    .wavefront_size: 32
amdhsa.target:   amdgcn-amd-amdhsa--gfx1250
amdhsa.version:
  - 1
  - 2
...

	.end_amdgpu_metadata
